;; amdgpu-corpus repo=tuanlda78202/gpt-oss-amd kind=compiled arch=gfx1100 opt=O3
	.text
	.amdgcn_target "amdgcn-amd-amdhsa--gfx1100"
	.amdhsa_code_object_version 6
	.protected	_Z11topk_kernelPfS_Piiii ; -- Begin function _Z11topk_kernelPfS_Piiii
	.globl	_Z11topk_kernelPfS_Piiii
	.p2align	8
	.type	_Z11topk_kernelPfS_Piiii,@function
_Z11topk_kernelPfS_Piiii:               ; @_Z11topk_kernelPfS_Piiii
; %bb.0:
	s_load_b128 s[4:7], s[0:1], 0x18
	s_waitcnt lgkmcnt(0)
	s_cmp_ge_i32 s15, s4
	s_cbranch_scc1 .LBB0_24
; %bb.1:
	s_clause 0x1
	s_load_b128 s[8:11], s[0:1], 0x0
	s_load_b64 s[0:1], s[0:1], 0x10
	v_dual_mov_b32 v2, 0xff7ff023 :: v_dual_mov_b32 v3, -1
	v_lshlrev_b32_e32 v1, 2, v0
	s_mov_b32 s2, exec_lo
	v_cmpx_gt_i32_e64 s5, v0
	s_cbranch_execz .LBB0_3
; %bb.2:
	s_mul_i32 s12, s15, s5
	v_mov_b32_e32 v3, v0
	s_ashr_i32 s13, s12, 31
	s_delay_alu instid0(SALU_CYCLE_1)
	s_lshl_b64 s[12:13], s[12:13], 2
	s_waitcnt lgkmcnt(0)
	s_add_u32 s8, s8, s12
	s_addc_u32 s9, s9, s13
	global_load_b32 v2, v1, s[8:9]
.LBB0_3:
	s_or_b32 exec_lo, exec_lo, s2
	s_delay_alu instid0(SALU_CYCLE_1)
	s_mov_b32 s2, exec_lo
	s_waitcnt vmcnt(0)
	ds_store_2addr_stride64_b32 v1, v2, v3 offset1:16
	s_waitcnt lgkmcnt(0)
	s_barrier
	buffer_gl0_inv
	v_cmpx_eq_u32_e32 0, v0
	s_cbranch_execz .LBB0_22
; %bb.4:
	s_min_i32 s4, s6, s5
	s_delay_alu instid0(SALU_CYCLE_1)
	s_cmp_lt_i32 s4, 1
	s_cbranch_scc1 .LBB0_22
; %bb.5:
	s_cmp_eq_u32 s4, 1
	s_mov_b32 s3, 0
	s_cbranch_scc1 .LBB0_16
; %bb.6:
	s_and_b32 s3, s4, 0x7ffffffe
	s_mov_b32 s7, 0
	s_mov_b32 s8, 4
	;; [unrolled: 1-line block ×3, first 2 shown]
	s_branch .LBB0_8
.LBB0_7:                                ;   in Loop: Header=BB0_8 Depth=1
	s_add_i32 s8, s8, 8
	s_add_i32 s9, s9, 8
	s_cmp_lg_u32 s7, s3
	s_cbranch_scc0 .LBB0_16
.LBB0_8:                                ; =>This Loop Header: Depth=1
                                        ;     Child Loop BB0_9 Depth 2
                                        ;     Child Loop BB0_13 Depth 2
	s_lshl_b32 s12, s7, 2
	s_or_b32 s13, s7, 1
	v_mov_b32_e32 v2, s12
	s_cmp_ge_i32 s13, s5
	s_mov_b32 s14, s7
	s_mov_b32 s16, s8
	;; [unrolled: 1-line block ×3, first 2 shown]
	ds_load_b32 v2, v2
	s_waitcnt lgkmcnt(0)
	v_mov_b32_e32 v3, v2
	s_cbranch_scc1 .LBB0_10
.LBB0_9:                                ;   Parent Loop BB0_8 Depth=1
                                        ; =>  This Inner Loop Header: Depth=2
	v_mov_b32_e32 v4, s16
	ds_load_b32 v4, v4
	s_waitcnt lgkmcnt(0)
	v_cmp_gt_f32_e32 vcc_lo, v4, v3
	v_cndmask_b32_e32 v3, v3, v4, vcc_lo
	s_and_b32 s18, vcc_lo, exec_lo
	s_cselect_b32 s14, s17, s14
	s_add_i32 s17, s17, 1
	s_add_i32 s16, s16, 4
	s_cmp_ge_i32 s17, s5
	s_cbranch_scc0 .LBB0_9
.LBB0_10:                               ;   in Loop: Header=BB0_8 Depth=1
	s_cmp_lg_u32 s14, s7
	s_cbranch_scc0 .LBB0_12
; %bb.11:                               ;   in Loop: Header=BB0_8 Depth=1
	s_lshl_b32 s14, s14, 2
	s_delay_alu instid0(SALU_CYCLE_1)
	v_dual_mov_b32 v6, s12 :: v_dual_mov_b32 v5, s14
	ds_load_2addr_stride64_b32 v[3:4], v5 offset1:16
	ds_load_b32 v7, v6 offset:4096
	s_waitcnt lgkmcnt(1)
	ds_store_b32 v6, v3
	ds_store_b32 v6, v4 offset:4096
	s_waitcnt lgkmcnt(2)
	ds_store_2addr_stride64_b32 v5, v2, v7 offset1:16
.LBB0_12:                               ;   in Loop: Header=BB0_8 Depth=1
	v_mov_b32_e32 v2, s12
	s_add_i32 s7, s7, 2
	s_mov_b32 s14, s13
	s_cmp_ge_i32 s7, s5
	s_mov_b32 s16, s9
	ds_load_b32 v2, v2 offset:4
	s_mov_b32 s17, s7
	s_waitcnt lgkmcnt(0)
	v_mov_b32_e32 v3, v2
	s_cbranch_scc1 .LBB0_14
.LBB0_13:                               ;   Parent Loop BB0_8 Depth=1
                                        ; =>  This Inner Loop Header: Depth=2
	v_mov_b32_e32 v4, s16
	ds_load_b32 v4, v4
	s_waitcnt lgkmcnt(0)
	v_cmp_gt_f32_e32 vcc_lo, v4, v3
	v_cndmask_b32_e32 v3, v3, v4, vcc_lo
	s_and_b32 s18, vcc_lo, exec_lo
	s_cselect_b32 s14, s17, s14
	s_add_i32 s17, s17, 1
	s_add_i32 s16, s16, 4
	s_cmp_lt_i32 s17, s5
	s_cbranch_scc1 .LBB0_13
.LBB0_14:                               ;   in Loop: Header=BB0_8 Depth=1
	s_cmp_eq_u32 s14, s13
	s_cbranch_scc1 .LBB0_7
; %bb.15:                               ;   in Loop: Header=BB0_8 Depth=1
	s_lshl_b32 s13, s14, 2
	s_delay_alu instid0(SALU_CYCLE_1)
	v_dual_mov_b32 v6, s12 :: v_dual_mov_b32 v5, s13
	ds_load_2addr_stride64_b32 v[3:4], v5 offset1:16
	ds_load_b32 v7, v6 offset:4100
	s_waitcnt lgkmcnt(1)
	ds_store_b32 v6, v3 offset:4
	ds_store_b32 v6, v4 offset:4100
	s_waitcnt lgkmcnt(2)
	ds_store_2addr_stride64_b32 v5, v2, v7 offset1:16
	s_branch .LBB0_7
.LBB0_16:
	s_bitcmp0_b32 s4, 0
	s_cbranch_scc1 .LBB0_22
; %bb.17:
	s_lshl_b32 s4, s3, 2
	s_add_i32 s8, s3, 1
	v_mov_b32_e32 v2, s4
	s_cmp_ge_i32 s8, s5
	s_mov_b32 s7, s3
	ds_load_b32 v2, v2
	s_cbranch_scc1 .LBB0_20
; %bb.18:
	s_waitcnt lgkmcnt(0)
	v_mov_b32_e32 v3, v2
	s_add_i32 s9, s4, 4
	s_mov_b32 s7, s3
.LBB0_19:                               ; =>This Inner Loop Header: Depth=1
	v_mov_b32_e32 v4, s9
	ds_load_b32 v4, v4
	s_waitcnt lgkmcnt(0)
	v_cmp_gt_f32_e32 vcc_lo, v4, v3
	v_cndmask_b32_e32 v3, v3, v4, vcc_lo
	s_and_b32 s12, vcc_lo, exec_lo
	s_cselect_b32 s7, s8, s7
	s_add_i32 s8, s8, 1
	s_add_i32 s9, s9, 4
	s_cmp_lt_i32 s8, s5
	s_cbranch_scc1 .LBB0_19
.LBB0_20:
	s_cmp_eq_u32 s7, s3
	s_cbranch_scc1 .LBB0_22
; %bb.21:
	s_lshl_b32 s3, s7, 2
	s_delay_alu instid0(SALU_CYCLE_1)
	v_dual_mov_b32 v8, s4 :: v_dual_mov_b32 v5, s3
	v_mov_b32_e32 v6, s4
	ds_load_2addr_stride64_b32 v[3:4], v5 offset1:16
	ds_load_b32 v7, v6 offset:4096
	s_waitcnt lgkmcnt(1)
	ds_store_b32 v8, v3
	ds_store_b32 v6, v4 offset:4096
	s_waitcnt lgkmcnt(2)
	ds_store_2addr_stride64_b32 v5, v2, v7 offset1:16
.LBB0_22:
	s_or_b32 exec_lo, exec_lo, s2
	s_waitcnt lgkmcnt(0)
	s_barrier
	buffer_gl0_inv
	s_mov_b32 s2, exec_lo
	v_cmpx_gt_i32_e64 s6, v0
	s_cbranch_execz .LBB0_24
; %bb.23:
	v_or_b32_e32 v0, 0x1000, v1
	s_mul_i32 s2, s15, s6
	ds_load_b32 v2, v1
	ds_load_b32 v0, v0
	s_ashr_i32 s3, s2, 31
	s_delay_alu instid0(SALU_CYCLE_1) | instskip(NEXT) | instid1(SALU_CYCLE_1)
	s_lshl_b64 s[2:3], s[2:3], 2
	s_add_u32 s4, s10, s2
	s_addc_u32 s5, s11, s3
	s_add_u32 s0, s0, s2
	s_addc_u32 s1, s1, s3
	s_waitcnt lgkmcnt(1)
	global_store_b32 v1, v2, s[4:5]
	s_waitcnt lgkmcnt(0)
	global_store_b32 v1, v0, s[0:1]
.LBB0_24:
	s_nop 0
	s_sendmsg sendmsg(MSG_DEALLOC_VGPRS)
	s_endpgm
	.section	.rodata,"a",@progbits
	.p2align	6, 0x0
	.amdhsa_kernel _Z11topk_kernelPfS_Piiii
		.amdhsa_group_segment_fixed_size 8192
		.amdhsa_private_segment_fixed_size 0
		.amdhsa_kernarg_size 36
		.amdhsa_user_sgpr_count 15
		.amdhsa_user_sgpr_dispatch_ptr 0
		.amdhsa_user_sgpr_queue_ptr 0
		.amdhsa_user_sgpr_kernarg_segment_ptr 1
		.amdhsa_user_sgpr_dispatch_id 0
		.amdhsa_user_sgpr_private_segment_size 0
		.amdhsa_wavefront_size32 1
		.amdhsa_uses_dynamic_stack 0
		.amdhsa_enable_private_segment 0
		.amdhsa_system_sgpr_workgroup_id_x 1
		.amdhsa_system_sgpr_workgroup_id_y 0
		.amdhsa_system_sgpr_workgroup_id_z 0
		.amdhsa_system_sgpr_workgroup_info 0
		.amdhsa_system_vgpr_workitem_id 0
		.amdhsa_next_free_vgpr 9
		.amdhsa_next_free_sgpr 19
		.amdhsa_reserve_vcc 1
		.amdhsa_float_round_mode_32 0
		.amdhsa_float_round_mode_16_64 0
		.amdhsa_float_denorm_mode_32 3
		.amdhsa_float_denorm_mode_16_64 3
		.amdhsa_dx10_clamp 1
		.amdhsa_ieee_mode 1
		.amdhsa_fp16_overflow 0
		.amdhsa_workgroup_processor_mode 1
		.amdhsa_memory_ordered 1
		.amdhsa_forward_progress 0
		.amdhsa_shared_vgpr_count 0
		.amdhsa_exception_fp_ieee_invalid_op 0
		.amdhsa_exception_fp_denorm_src 0
		.amdhsa_exception_fp_ieee_div_zero 0
		.amdhsa_exception_fp_ieee_overflow 0
		.amdhsa_exception_fp_ieee_underflow 0
		.amdhsa_exception_fp_ieee_inexact 0
		.amdhsa_exception_int_div_zero 0
	.end_amdhsa_kernel
	.text
.Lfunc_end0:
	.size	_Z11topk_kernelPfS_Piiii, .Lfunc_end0-_Z11topk_kernelPfS_Piiii
                                        ; -- End function
	.section	.AMDGPU.csdata,"",@progbits
; Kernel info:
; codeLenInByte = 872
; NumSgprs: 21
; NumVgprs: 9
; ScratchSize: 0
; MemoryBound: 0
; FloatMode: 240
; IeeeMode: 1
; LDSByteSize: 8192 bytes/workgroup (compile time only)
; SGPRBlocks: 2
; VGPRBlocks: 1
; NumSGPRsForWavesPerEU: 21
; NumVGPRsForWavesPerEU: 9
; Occupancy: 16
; WaveLimiterHint : 0
; COMPUTE_PGM_RSRC2:SCRATCH_EN: 0
; COMPUTE_PGM_RSRC2:USER_SGPR: 15
; COMPUTE_PGM_RSRC2:TRAP_HANDLER: 0
; COMPUTE_PGM_RSRC2:TGID_X_EN: 1
; COMPUTE_PGM_RSRC2:TGID_Y_EN: 0
; COMPUTE_PGM_RSRC2:TGID_Z_EN: 0
; COMPUTE_PGM_RSRC2:TIDIG_COMP_CNT: 0
	.text
	.p2alignl 7, 3214868480
	.fill 96, 4, 3214868480
	.type	__hip_cuid_662799e74e7b9565,@object ; @__hip_cuid_662799e74e7b9565
	.section	.bss,"aw",@nobits
	.globl	__hip_cuid_662799e74e7b9565
__hip_cuid_662799e74e7b9565:
	.byte	0                               ; 0x0
	.size	__hip_cuid_662799e74e7b9565, 1

	.ident	"AMD clang version 19.0.0git (https://github.com/RadeonOpenCompute/llvm-project roc-6.4.0 25133 c7fe45cf4b819c5991fe208aaa96edf142730f1d)"
	.section	".note.GNU-stack","",@progbits
	.addrsig
	.addrsig_sym __hip_cuid_662799e74e7b9565
	.amdgpu_metadata
---
amdhsa.kernels:
  - .args:
      - .address_space:  global
        .offset:         0
        .size:           8
        .value_kind:     global_buffer
      - .address_space:  global
        .offset:         8
        .size:           8
        .value_kind:     global_buffer
      - .address_space:  global
        .offset:         16
        .size:           8
        .value_kind:     global_buffer
      - .offset:         24
        .size:           4
        .value_kind:     by_value
      - .offset:         28
        .size:           4
        .value_kind:     by_value
      - .offset:         32
        .size:           4
        .value_kind:     by_value
    .group_segment_fixed_size: 8192
    .kernarg_segment_align: 8
    .kernarg_segment_size: 36
    .language:       OpenCL C
    .language_version:
      - 2
      - 0
    .max_flat_workgroup_size: 1024
    .name:           _Z11topk_kernelPfS_Piiii
    .private_segment_fixed_size: 0
    .sgpr_count:     21
    .sgpr_spill_count: 0
    .symbol:         _Z11topk_kernelPfS_Piiii.kd
    .uniform_work_group_size: 1
    .uses_dynamic_stack: false
    .vgpr_count:     9
    .vgpr_spill_count: 0
    .wavefront_size: 32
    .workgroup_processor_mode: 1
amdhsa.target:   amdgcn-amd-amdhsa--gfx1100
amdhsa.version:
  - 1
  - 2
...

	.end_amdgpu_metadata
